;; amdgpu-corpus repo=zjin-lcf/HeCBench kind=compiled arch=gfx906 opt=O3
	.amdgcn_target "amdgcn-amd-amdhsa--gfx906"
	.amdhsa_code_object_version 6
	.section	.text._Z8bincountIifiL16DeviceMemoryType0EEvPT_PKT0_T1_S3_S3_S6_S6_,"axG",@progbits,_Z8bincountIifiL16DeviceMemoryType0EEvPT_PKT0_T1_S3_S3_S6_S6_,comdat
	.protected	_Z8bincountIifiL16DeviceMemoryType0EEvPT_PKT0_T1_S3_S3_S6_S6_ ; -- Begin function _Z8bincountIifiL16DeviceMemoryType0EEvPT_PKT0_T1_S3_S3_S6_S6_
	.globl	_Z8bincountIifiL16DeviceMemoryType0EEvPT_PKT0_T1_S3_S3_S6_S6_
	.p2align	8
	.type	_Z8bincountIifiL16DeviceMemoryType0EEvPT_PKT0_T1_S3_S3_S6_S6_,@function
_Z8bincountIifiL16DeviceMemoryType0EEvPT_PKT0_T1_S3_S3_S6_S6_: ; @_Z8bincountIifiL16DeviceMemoryType0EEvPT_PKT0_T1_S3_S3_S6_S6_
; %bb.0:
	s_load_dwordx4 s[8:11], s[4:5], 0x10
	s_add_u32 s2, s4, 40
	s_addc_u32 s3, s5, 0
                                        ; implicit-def: $sgpr7
	s_waitcnt lgkmcnt(0)
	v_cmp_gt_i32_e64 s[0:1], s8, v0
	v_cmp_le_i32_e32 vcc, s8, v0
	s_and_saveexec_b64 s[12:13], vcc
	s_xor_b64 s[12:13], exec, s[12:13]
	s_cbranch_execz .LBB0_2
; %bb.1:
	s_load_dword s7, s[2:3], 0xc
	s_waitcnt lgkmcnt(0)
	s_and_b32 s7, s7, 0xffff
.LBB0_2:
	s_or_saveexec_b64 s[12:13], s[12:13]
	v_mov_b32_e32 v4, s7
	v_lshl_add_u32 v3, v0, 2, 0
	s_xor_b64 exec, exec, s[12:13]
	s_cbranch_execz .LBB0_6
; %bb.3:
	s_load_dword s7, s[2:3], 0xc
	v_lshl_add_u32 v1, v0, 2, 0
	s_mov_b64 s[14:15], 0
	v_mov_b32_e32 v2, 0
	v_mov_b32_e32 v4, v0
	s_waitcnt lgkmcnt(0)
	s_and_b32 s7, s7, 0xffff
	s_lshl_b32 s16, s7, 2
.LBB0_4:                                ; =>This Inner Loop Header: Depth=1
	v_add_u32_e32 v4, s7, v4
	v_cmp_le_i32_e32 vcc, s8, v4
	ds_write_b32 v1, v2
	s_or_b64 s[14:15], vcc, s[14:15]
	v_add_u32_e32 v1, s16, v1
	s_andn2_b64 exec, exec, s[14:15]
	s_cbranch_execnz .LBB0_4
; %bb.5:
	s_or_b64 exec, exec, s[14:15]
	v_mov_b32_e32 v4, s7
.LBB0_6:
	s_or_b64 exec, exec, s[12:13]
	s_load_dwordx4 s[12:15], s[4:5], 0x0
	v_mad_u64_u32 v[1:2], s[4:5], s6, v4, v[0:1]
	s_waitcnt lgkmcnt(0)
	s_barrier
	v_cmp_gt_i32_e32 vcc, s11, v1
	s_and_saveexec_b64 s[4:5], vcc
	s_cbranch_execz .LBB0_11
; %bb.7:
	s_load_dword s2, s[2:3], 0x0
	v_cvt_f32_i32_e32 v5, s8
	v_mov_b32_e32 v2, s9
	v_sub_f32_e32 v6, s10, v2
	s_mov_b64 s[6:7], 0
	s_waitcnt lgkmcnt(0)
	v_mul_lo_u32 v7, s2, v4
	v_mov_b32_e32 v8, s15
	v_mov_b32_e32 v9, 1
	s_branch .LBB0_9
.LBB0_8:                                ;   in Loop: Header=BB0_9 Depth=1
	s_or_b64 exec, exec, s[2:3]
	v_add_u32_e32 v1, v1, v7
	v_cmp_le_i32_e32 vcc, s11, v1
	s_or_b64 s[6:7], vcc, s[6:7]
	s_andn2_b64 exec, exec, s[6:7]
	s_cbranch_execz .LBB0_11
.LBB0_9:                                ; =>This Inner Loop Header: Depth=1
	v_ashrrev_i32_e32 v2, 31, v1
	v_lshlrev_b64 v[10:11], 2, v[1:2]
	v_add_co_u32_e32 v10, vcc, s14, v10
	v_addc_co_u32_e32 v11, vcc, v8, v11, vcc
	global_load_dword v2, v[10:11], off
	s_waitcnt vmcnt(0)
	v_cmp_le_f32_e32 vcc, s9, v2
	v_cmp_ge_f32_e64 s[2:3], s10, v2
	s_and_b64 s[16:17], vcc, s[2:3]
	s_and_saveexec_b64 s[2:3], s[16:17]
	s_cbranch_execz .LBB0_8
; %bb.10:                               ;   in Loop: Header=BB0_9 Depth=1
	v_subrev_f32_e32 v2, s9, v2
	v_mul_f32_e32 v2, v2, v5
	v_div_scale_f32 v10, s[16:17], v6, v6, v2
	v_div_scale_f32 v11, vcc, v2, v6, v2
	v_rcp_f32_e32 v12, v10
	v_fma_f32 v13, -v10, v12, 1.0
	v_fmac_f32_e32 v12, v13, v12
	v_mul_f32_e32 v13, v11, v12
	v_fma_f32 v14, -v10, v13, v11
	v_fmac_f32_e32 v13, v14, v12
	v_fma_f32 v10, -v10, v13, v11
	v_div_fmas_f32 v10, v10, v12, v13
	v_div_fixup_f32 v2, v10, v6, v2
	v_cvt_i32_f32_e32 v2, v2
	v_cmp_eq_u32_e32 vcc, s8, v2
	v_cndmask_b32_e64 v10, 0, -1, vcc
	v_lshlrev_b32_e32 v10, 2, v10
	v_lshlrev_b32_e32 v2, 2, v2
	v_add3_u32 v2, 0, v10, v2
	ds_add_u32 v2, v9
	s_branch .LBB0_8
.LBB0_11:
	s_or_b64 exec, exec, s[4:5]
	s_waitcnt lgkmcnt(0)
	s_barrier
	s_and_saveexec_b64 s[2:3], s[0:1]
	s_cbranch_execz .LBB0_14
; %bb.12:
	v_lshlrev_b32_e32 v2, 2, v4
	s_mov_b64 s[0:1], 0
	v_mov_b32_e32 v5, s13
.LBB0_13:                               ; =>This Inner Loop Header: Depth=1
	v_ashrrev_i32_e32 v1, 31, v0
	ds_read_b32 v8, v3
	v_lshlrev_b64 v[6:7], 2, v[0:1]
	v_add_u32_e32 v0, v0, v4
	v_add_co_u32_e32 v6, vcc, s12, v6
	v_addc_co_u32_e32 v7, vcc, v5, v7, vcc
	s_waitcnt lgkmcnt(0)
	global_atomic_add v[6:7], v8, off
	v_cmp_le_i32_e32 vcc, s8, v0
	s_or_b64 s[0:1], vcc, s[0:1]
	v_add_u32_e32 v3, v3, v2
	s_andn2_b64 exec, exec, s[0:1]
	s_cbranch_execnz .LBB0_13
.LBB0_14:
	s_endpgm
	.section	.rodata,"a",@progbits
	.p2align	6, 0x0
	.amdhsa_kernel _Z8bincountIifiL16DeviceMemoryType0EEvPT_PKT0_T1_S3_S3_S6_S6_
		.amdhsa_group_segment_fixed_size 0
		.amdhsa_private_segment_fixed_size 0
		.amdhsa_kernarg_size 296
		.amdhsa_user_sgpr_count 6
		.amdhsa_user_sgpr_private_segment_buffer 1
		.amdhsa_user_sgpr_dispatch_ptr 0
		.amdhsa_user_sgpr_queue_ptr 0
		.amdhsa_user_sgpr_kernarg_segment_ptr 1
		.amdhsa_user_sgpr_dispatch_id 0
		.amdhsa_user_sgpr_flat_scratch_init 0
		.amdhsa_user_sgpr_private_segment_size 0
		.amdhsa_uses_dynamic_stack 0
		.amdhsa_system_sgpr_private_segment_wavefront_offset 0
		.amdhsa_system_sgpr_workgroup_id_x 1
		.amdhsa_system_sgpr_workgroup_id_y 0
		.amdhsa_system_sgpr_workgroup_id_z 0
		.amdhsa_system_sgpr_workgroup_info 0
		.amdhsa_system_vgpr_workitem_id 0
		.amdhsa_next_free_vgpr 15
		.amdhsa_next_free_sgpr 18
		.amdhsa_reserve_vcc 1
		.amdhsa_reserve_flat_scratch 0
		.amdhsa_float_round_mode_32 0
		.amdhsa_float_round_mode_16_64 0
		.amdhsa_float_denorm_mode_32 3
		.amdhsa_float_denorm_mode_16_64 3
		.amdhsa_dx10_clamp 1
		.amdhsa_ieee_mode 1
		.amdhsa_fp16_overflow 0
		.amdhsa_exception_fp_ieee_invalid_op 0
		.amdhsa_exception_fp_denorm_src 0
		.amdhsa_exception_fp_ieee_div_zero 0
		.amdhsa_exception_fp_ieee_overflow 0
		.amdhsa_exception_fp_ieee_underflow 0
		.amdhsa_exception_fp_ieee_inexact 0
		.amdhsa_exception_int_div_zero 0
	.end_amdhsa_kernel
	.section	.text._Z8bincountIifiL16DeviceMemoryType0EEvPT_PKT0_T1_S3_S3_S6_S6_,"axG",@progbits,_Z8bincountIifiL16DeviceMemoryType0EEvPT_PKT0_T1_S3_S3_S6_S6_,comdat
.Lfunc_end0:
	.size	_Z8bincountIifiL16DeviceMemoryType0EEvPT_PKT0_T1_S3_S3_S6_S6_, .Lfunc_end0-_Z8bincountIifiL16DeviceMemoryType0EEvPT_PKT0_T1_S3_S3_S6_S6_
                                        ; -- End function
	.set _Z8bincountIifiL16DeviceMemoryType0EEvPT_PKT0_T1_S3_S3_S6_S6_.num_vgpr, 15
	.set _Z8bincountIifiL16DeviceMemoryType0EEvPT_PKT0_T1_S3_S3_S6_S6_.num_agpr, 0
	.set _Z8bincountIifiL16DeviceMemoryType0EEvPT_PKT0_T1_S3_S3_S6_S6_.numbered_sgpr, 18
	.set _Z8bincountIifiL16DeviceMemoryType0EEvPT_PKT0_T1_S3_S3_S6_S6_.num_named_barrier, 0
	.set _Z8bincountIifiL16DeviceMemoryType0EEvPT_PKT0_T1_S3_S3_S6_S6_.private_seg_size, 0
	.set _Z8bincountIifiL16DeviceMemoryType0EEvPT_PKT0_T1_S3_S3_S6_S6_.uses_vcc, 1
	.set _Z8bincountIifiL16DeviceMemoryType0EEvPT_PKT0_T1_S3_S3_S6_S6_.uses_flat_scratch, 0
	.set _Z8bincountIifiL16DeviceMemoryType0EEvPT_PKT0_T1_S3_S3_S6_S6_.has_dyn_sized_stack, 0
	.set _Z8bincountIifiL16DeviceMemoryType0EEvPT_PKT0_T1_S3_S3_S6_S6_.has_recursion, 0
	.set _Z8bincountIifiL16DeviceMemoryType0EEvPT_PKT0_T1_S3_S3_S6_S6_.has_indirect_call, 0
	.section	.AMDGPU.csdata,"",@progbits
; Kernel info:
; codeLenInByte = 564
; TotalNumSgprs: 22
; NumVgprs: 15
; ScratchSize: 0
; MemoryBound: 0
; FloatMode: 240
; IeeeMode: 1
; LDSByteSize: 0 bytes/workgroup (compile time only)
; SGPRBlocks: 2
; VGPRBlocks: 3
; NumSGPRsForWavesPerEU: 22
; NumVGPRsForWavesPerEU: 15
; Occupancy: 10
; WaveLimiterHint : 0
; COMPUTE_PGM_RSRC2:SCRATCH_EN: 0
; COMPUTE_PGM_RSRC2:USER_SGPR: 6
; COMPUTE_PGM_RSRC2:TRAP_HANDLER: 0
; COMPUTE_PGM_RSRC2:TGID_X_EN: 1
; COMPUTE_PGM_RSRC2:TGID_Y_EN: 0
; COMPUTE_PGM_RSRC2:TGID_Z_EN: 0
; COMPUTE_PGM_RSRC2:TIDIG_COMP_CNT: 0
	.section	.text._Z8bincountIifiL16DeviceMemoryType1EEvPT_PKT0_T1_S3_S3_S6_S6_,"axG",@progbits,_Z8bincountIifiL16DeviceMemoryType1EEvPT_PKT0_T1_S3_S3_S6_S6_,comdat
	.protected	_Z8bincountIifiL16DeviceMemoryType1EEvPT_PKT0_T1_S3_S3_S6_S6_ ; -- Begin function _Z8bincountIifiL16DeviceMemoryType1EEvPT_PKT0_T1_S3_S3_S6_S6_
	.globl	_Z8bincountIifiL16DeviceMemoryType1EEvPT_PKT0_T1_S3_S3_S6_S6_
	.p2align	8
	.type	_Z8bincountIifiL16DeviceMemoryType1EEvPT_PKT0_T1_S3_S3_S6_S6_,@function
_Z8bincountIifiL16DeviceMemoryType1EEvPT_PKT0_T1_S3_S3_S6_S6_: ; @_Z8bincountIifiL16DeviceMemoryType1EEvPT_PKT0_T1_S3_S3_S6_S6_
; %bb.0:
	s_load_dword s2, s[4:5], 0x34
	s_load_dwordx4 s[8:11], s[4:5], 0x10
	s_add_u32 s0, s4, 40
	s_addc_u32 s1, s5, 0
	s_waitcnt lgkmcnt(0)
	s_and_b32 s2, s2, 0xffff
	s_mul_i32 s6, s6, s2
	v_add_u32_e32 v0, s6, v0
	v_cmp_gt_i32_e32 vcc, s11, v0
	s_and_saveexec_b64 s[6:7], vcc
	s_cbranch_execz .LBB1_5
; %bb.1:
	s_load_dword s3, s[0:1], 0x0
	s_load_dwordx4 s[12:15], s[4:5], 0x0
	v_cvt_f32_i32_e32 v2, s8
	v_mov_b32_e32 v1, s9
	v_sub_f32_e32 v3, s10, v1
	s_waitcnt lgkmcnt(0)
	s_mul_i32 s4, s3, s2
	s_mov_b64 s[2:3], 0
	v_mov_b32_e32 v4, s15
	v_mov_b32_e32 v5, 1
	s_branch .LBB1_3
.LBB1_2:                                ;   in Loop: Header=BB1_3 Depth=1
	s_or_b64 exec, exec, s[0:1]
	v_add_u32_e32 v0, s4, v0
	v_cmp_le_i32_e32 vcc, s11, v0
	s_or_b64 s[2:3], vcc, s[2:3]
	s_andn2_b64 exec, exec, s[2:3]
	s_cbranch_execz .LBB1_5
.LBB1_3:                                ; =>This Inner Loop Header: Depth=1
	v_ashrrev_i32_e32 v1, 31, v0
	v_lshlrev_b64 v[6:7], 2, v[0:1]
	v_add_co_u32_e32 v6, vcc, s14, v6
	v_addc_co_u32_e32 v7, vcc, v4, v7, vcc
	global_load_dword v1, v[6:7], off
	s_waitcnt vmcnt(0)
	v_cmp_le_f32_e32 vcc, s9, v1
	v_cmp_ge_f32_e64 s[0:1], s10, v1
	s_and_b64 s[6:7], vcc, s[0:1]
	s_and_saveexec_b64 s[0:1], s[6:7]
	s_cbranch_execz .LBB1_2
; %bb.4:                                ;   in Loop: Header=BB1_3 Depth=1
	v_subrev_f32_e32 v1, s9, v1
	v_mul_f32_e32 v1, v1, v2
	v_div_scale_f32 v6, s[6:7], v3, v3, v1
	v_div_scale_f32 v7, vcc, v1, v3, v1
	v_rcp_f32_e32 v8, v6
	v_fma_f32 v9, -v6, v8, 1.0
	v_fmac_f32_e32 v8, v9, v8
	v_mul_f32_e32 v9, v7, v8
	v_fma_f32 v10, -v6, v9, v7
	v_fmac_f32_e32 v9, v10, v8
	v_fma_f32 v6, -v6, v9, v7
	v_div_fmas_f32 v6, v6, v8, v9
	v_mov_b32_e32 v8, s13
	v_div_fixup_f32 v1, v6, v3, v1
	v_cvt_i32_f32_e32 v1, v1
	v_cmp_eq_u32_e32 vcc, s8, v1
	v_subbrev_co_u32_e32 v6, vcc, 0, v1, vcc
	v_ashrrev_i32_e32 v7, 31, v6
	v_lshlrev_b64 v[6:7], 2, v[6:7]
	v_add_co_u32_e32 v6, vcc, s12, v6
	v_addc_co_u32_e32 v7, vcc, v8, v7, vcc
	global_atomic_add v[6:7], v5, off
	s_branch .LBB1_2
.LBB1_5:
	s_endpgm
	.section	.rodata,"a",@progbits
	.p2align	6, 0x0
	.amdhsa_kernel _Z8bincountIifiL16DeviceMemoryType1EEvPT_PKT0_T1_S3_S3_S6_S6_
		.amdhsa_group_segment_fixed_size 0
		.amdhsa_private_segment_fixed_size 0
		.amdhsa_kernarg_size 296
		.amdhsa_user_sgpr_count 6
		.amdhsa_user_sgpr_private_segment_buffer 1
		.amdhsa_user_sgpr_dispatch_ptr 0
		.amdhsa_user_sgpr_queue_ptr 0
		.amdhsa_user_sgpr_kernarg_segment_ptr 1
		.amdhsa_user_sgpr_dispatch_id 0
		.amdhsa_user_sgpr_flat_scratch_init 0
		.amdhsa_user_sgpr_private_segment_size 0
		.amdhsa_uses_dynamic_stack 0
		.amdhsa_system_sgpr_private_segment_wavefront_offset 0
		.amdhsa_system_sgpr_workgroup_id_x 1
		.amdhsa_system_sgpr_workgroup_id_y 0
		.amdhsa_system_sgpr_workgroup_id_z 0
		.amdhsa_system_sgpr_workgroup_info 0
		.amdhsa_system_vgpr_workitem_id 0
		.amdhsa_next_free_vgpr 11
		.amdhsa_next_free_sgpr 16
		.amdhsa_reserve_vcc 1
		.amdhsa_reserve_flat_scratch 0
		.amdhsa_float_round_mode_32 0
		.amdhsa_float_round_mode_16_64 0
		.amdhsa_float_denorm_mode_32 3
		.amdhsa_float_denorm_mode_16_64 3
		.amdhsa_dx10_clamp 1
		.amdhsa_ieee_mode 1
		.amdhsa_fp16_overflow 0
		.amdhsa_exception_fp_ieee_invalid_op 0
		.amdhsa_exception_fp_denorm_src 0
		.amdhsa_exception_fp_ieee_div_zero 0
		.amdhsa_exception_fp_ieee_overflow 0
		.amdhsa_exception_fp_ieee_underflow 0
		.amdhsa_exception_fp_ieee_inexact 0
		.amdhsa_exception_int_div_zero 0
	.end_amdhsa_kernel
	.section	.text._Z8bincountIifiL16DeviceMemoryType1EEvPT_PKT0_T1_S3_S3_S6_S6_,"axG",@progbits,_Z8bincountIifiL16DeviceMemoryType1EEvPT_PKT0_T1_S3_S3_S6_S6_,comdat
.Lfunc_end1:
	.size	_Z8bincountIifiL16DeviceMemoryType1EEvPT_PKT0_T1_S3_S3_S6_S6_, .Lfunc_end1-_Z8bincountIifiL16DeviceMemoryType1EEvPT_PKT0_T1_S3_S3_S6_S6_
                                        ; -- End function
	.set _Z8bincountIifiL16DeviceMemoryType1EEvPT_PKT0_T1_S3_S3_S6_S6_.num_vgpr, 11
	.set _Z8bincountIifiL16DeviceMemoryType1EEvPT_PKT0_T1_S3_S3_S6_S6_.num_agpr, 0
	.set _Z8bincountIifiL16DeviceMemoryType1EEvPT_PKT0_T1_S3_S3_S6_S6_.numbered_sgpr, 16
	.set _Z8bincountIifiL16DeviceMemoryType1EEvPT_PKT0_T1_S3_S3_S6_S6_.num_named_barrier, 0
	.set _Z8bincountIifiL16DeviceMemoryType1EEvPT_PKT0_T1_S3_S3_S6_S6_.private_seg_size, 0
	.set _Z8bincountIifiL16DeviceMemoryType1EEvPT_PKT0_T1_S3_S3_S6_S6_.uses_vcc, 1
	.set _Z8bincountIifiL16DeviceMemoryType1EEvPT_PKT0_T1_S3_S3_S6_S6_.uses_flat_scratch, 0
	.set _Z8bincountIifiL16DeviceMemoryType1EEvPT_PKT0_T1_S3_S3_S6_S6_.has_dyn_sized_stack, 0
	.set _Z8bincountIifiL16DeviceMemoryType1EEvPT_PKT0_T1_S3_S3_S6_S6_.has_recursion, 0
	.set _Z8bincountIifiL16DeviceMemoryType1EEvPT_PKT0_T1_S3_S3_S6_S6_.has_indirect_call, 0
	.section	.AMDGPU.csdata,"",@progbits
; Kernel info:
; codeLenInByte = 320
; TotalNumSgprs: 20
; NumVgprs: 11
; ScratchSize: 0
; MemoryBound: 0
; FloatMode: 240
; IeeeMode: 1
; LDSByteSize: 0 bytes/workgroup (compile time only)
; SGPRBlocks: 2
; VGPRBlocks: 2
; NumSGPRsForWavesPerEU: 20
; NumVGPRsForWavesPerEU: 11
; Occupancy: 10
; WaveLimiterHint : 1
; COMPUTE_PGM_RSRC2:SCRATCH_EN: 0
; COMPUTE_PGM_RSRC2:USER_SGPR: 6
; COMPUTE_PGM_RSRC2:TRAP_HANDLER: 0
; COMPUTE_PGM_RSRC2:TGID_X_EN: 1
; COMPUTE_PGM_RSRC2:TGID_Y_EN: 0
; COMPUTE_PGM_RSRC2:TGID_Z_EN: 0
; COMPUTE_PGM_RSRC2:TIDIG_COMP_CNT: 0
	.section	.AMDGPU.gpr_maximums,"",@progbits
	.set amdgpu.max_num_vgpr, 0
	.set amdgpu.max_num_agpr, 0
	.set amdgpu.max_num_sgpr, 0
	.section	.AMDGPU.csdata,"",@progbits
	.type	__hip_cuid_e81973e65a2cd362,@object ; @__hip_cuid_e81973e65a2cd362
	.section	.bss,"aw",@nobits
	.globl	__hip_cuid_e81973e65a2cd362
__hip_cuid_e81973e65a2cd362:
	.byte	0                               ; 0x0
	.size	__hip_cuid_e81973e65a2cd362, 1

	.ident	"AMD clang version 22.0.0git (https://github.com/RadeonOpenCompute/llvm-project roc-7.2.4 26084 f58b06dce1f9c15707c5f808fd002e18c2accf7e)"
	.section	".note.GNU-stack","",@progbits
	.addrsig
	.addrsig_sym my_smem
	.addrsig_sym __hip_cuid_e81973e65a2cd362
	.amdgpu_metadata
---
amdhsa.kernels:
  - .args:
      - .address_space:  global
        .offset:         0
        .size:           8
        .value_kind:     global_buffer
      - .address_space:  global
        .offset:         8
        .size:           8
        .value_kind:     global_buffer
      - .offset:         16
        .size:           4
        .value_kind:     by_value
      - .offset:         20
        .size:           4
        .value_kind:     by_value
      - .offset:         24
        .size:           4
        .value_kind:     by_value
      - .offset:         28
        .size:           4
        .value_kind:     by_value
      - .offset:         32
        .size:           4
        .value_kind:     by_value
      - .offset:         40
        .size:           4
        .value_kind:     hidden_block_count_x
      - .offset:         44
        .size:           4
        .value_kind:     hidden_block_count_y
      - .offset:         48
        .size:           4
        .value_kind:     hidden_block_count_z
      - .offset:         52
        .size:           2
        .value_kind:     hidden_group_size_x
      - .offset:         54
        .size:           2
        .value_kind:     hidden_group_size_y
      - .offset:         56
        .size:           2
        .value_kind:     hidden_group_size_z
      - .offset:         58
        .size:           2
        .value_kind:     hidden_remainder_x
      - .offset:         60
        .size:           2
        .value_kind:     hidden_remainder_y
      - .offset:         62
        .size:           2
        .value_kind:     hidden_remainder_z
      - .offset:         80
        .size:           8
        .value_kind:     hidden_global_offset_x
      - .offset:         88
        .size:           8
        .value_kind:     hidden_global_offset_y
      - .offset:         96
        .size:           8
        .value_kind:     hidden_global_offset_z
      - .offset:         104
        .size:           2
        .value_kind:     hidden_grid_dims
      - .offset:         160
        .size:           4
        .value_kind:     hidden_dynamic_lds_size
    .group_segment_fixed_size: 0
    .kernarg_segment_align: 8
    .kernarg_segment_size: 296
    .language:       OpenCL C
    .language_version:
      - 2
      - 0
    .max_flat_workgroup_size: 1024
    .name:           _Z8bincountIifiL16DeviceMemoryType0EEvPT_PKT0_T1_S3_S3_S6_S6_
    .private_segment_fixed_size: 0
    .sgpr_count:     22
    .sgpr_spill_count: 0
    .symbol:         _Z8bincountIifiL16DeviceMemoryType0EEvPT_PKT0_T1_S3_S3_S6_S6_.kd
    .uniform_work_group_size: 1
    .uses_dynamic_stack: false
    .vgpr_count:     15
    .vgpr_spill_count: 0
    .wavefront_size: 64
  - .args:
      - .address_space:  global
        .offset:         0
        .size:           8
        .value_kind:     global_buffer
      - .address_space:  global
        .offset:         8
        .size:           8
        .value_kind:     global_buffer
      - .offset:         16
        .size:           4
        .value_kind:     by_value
      - .offset:         20
        .size:           4
        .value_kind:     by_value
      - .offset:         24
        .size:           4
        .value_kind:     by_value
      - .offset:         28
        .size:           4
        .value_kind:     by_value
      - .offset:         32
        .size:           4
        .value_kind:     by_value
      - .offset:         40
        .size:           4
        .value_kind:     hidden_block_count_x
      - .offset:         44
        .size:           4
        .value_kind:     hidden_block_count_y
      - .offset:         48
        .size:           4
        .value_kind:     hidden_block_count_z
      - .offset:         52
        .size:           2
        .value_kind:     hidden_group_size_x
      - .offset:         54
        .size:           2
        .value_kind:     hidden_group_size_y
      - .offset:         56
        .size:           2
        .value_kind:     hidden_group_size_z
      - .offset:         58
        .size:           2
        .value_kind:     hidden_remainder_x
      - .offset:         60
        .size:           2
        .value_kind:     hidden_remainder_y
      - .offset:         62
        .size:           2
        .value_kind:     hidden_remainder_z
      - .offset:         80
        .size:           8
        .value_kind:     hidden_global_offset_x
      - .offset:         88
        .size:           8
        .value_kind:     hidden_global_offset_y
      - .offset:         96
        .size:           8
        .value_kind:     hidden_global_offset_z
      - .offset:         104
        .size:           2
        .value_kind:     hidden_grid_dims
    .group_segment_fixed_size: 0
    .kernarg_segment_align: 8
    .kernarg_segment_size: 296
    .language:       OpenCL C
    .language_version:
      - 2
      - 0
    .max_flat_workgroup_size: 1024
    .name:           _Z8bincountIifiL16DeviceMemoryType1EEvPT_PKT0_T1_S3_S3_S6_S6_
    .private_segment_fixed_size: 0
    .sgpr_count:     20
    .sgpr_spill_count: 0
    .symbol:         _Z8bincountIifiL16DeviceMemoryType1EEvPT_PKT0_T1_S3_S3_S6_S6_.kd
    .uniform_work_group_size: 1
    .uses_dynamic_stack: false
    .vgpr_count:     11
    .vgpr_spill_count: 0
    .wavefront_size: 64
amdhsa.target:   amdgcn-amd-amdhsa--gfx906
amdhsa.version:
  - 1
  - 2
...

	.end_amdgpu_metadata
